;; amdgpu-corpus repo=ROCm/rocFFT kind=compiled arch=gfx906 opt=O3
	.text
	.amdgcn_target "amdgcn-amd-amdhsa--gfx906"
	.amdhsa_code_object_version 6
	.protected	fft_rtc_fwd_len1944_factors_3_3_3_3_8_3_wgs_243_tpt_243_halfLds_sp_op_CI_CI_sbrr_dirReg ; -- Begin function fft_rtc_fwd_len1944_factors_3_3_3_3_8_3_wgs_243_tpt_243_halfLds_sp_op_CI_CI_sbrr_dirReg
	.globl	fft_rtc_fwd_len1944_factors_3_3_3_3_8_3_wgs_243_tpt_243_halfLds_sp_op_CI_CI_sbrr_dirReg
	.p2align	8
	.type	fft_rtc_fwd_len1944_factors_3_3_3_3_8_3_wgs_243_tpt_243_halfLds_sp_op_CI_CI_sbrr_dirReg,@function
fft_rtc_fwd_len1944_factors_3_3_3_3_8_3_wgs_243_tpt_243_halfLds_sp_op_CI_CI_sbrr_dirReg: ; @fft_rtc_fwd_len1944_factors_3_3_3_3_8_3_wgs_243_tpt_243_halfLds_sp_op_CI_CI_sbrr_dirReg
; %bb.0:
	s_load_dwordx4 s[16:19], s[4:5], 0x18
	s_load_dwordx4 s[8:11], s[4:5], 0x0
	;; [unrolled: 1-line block ×3, first 2 shown]
	v_mul_u32_u24_e32 v1, 0x10e, v0
	v_mov_b32_e32 v8, 0
	s_waitcnt lgkmcnt(0)
	s_load_dwordx2 s[20:21], s[16:17], 0x0
	s_load_dwordx2 s[2:3], s[18:19], 0x0
	v_cmp_lt_u64_e64 s[0:1], s[10:11], 2
	v_mov_b32_e32 v2, 0
	v_add_u32_sdwa v10, s6, v1 dst_sel:DWORD dst_unused:UNUSED_PAD src0_sel:DWORD src1_sel:WORD_1
	v_mov_b32_e32 v11, v8
	s_and_b64 vcc, exec, s[0:1]
	v_mov_b32_e32 v3, 0
	s_cbranch_vccnz .LBB0_8
; %bb.1:
	s_load_dwordx2 s[0:1], s[4:5], 0x10
	s_add_u32 s6, s18, 8
	s_addc_u32 s7, s19, 0
	s_add_u32 s22, s16, 8
	v_mov_b32_e32 v2, 0
	s_addc_u32 s23, s17, 0
	v_mov_b32_e32 v3, 0
	s_waitcnt lgkmcnt(0)
	s_add_u32 s24, s0, 8
	v_mov_b32_e32 v5, v3
	s_addc_u32 s25, s1, 0
	s_mov_b64 s[26:27], 1
	v_mov_b32_e32 v4, v2
.LBB0_2:                                ; =>This Inner Loop Header: Depth=1
	s_load_dwordx2 s[28:29], s[24:25], 0x0
                                        ; implicit-def: $vgpr6_vgpr7
	s_waitcnt lgkmcnt(0)
	v_or_b32_e32 v9, s29, v11
	v_cmp_ne_u64_e32 vcc, 0, v[8:9]
	s_and_saveexec_b64 s[0:1], vcc
	s_xor_b64 s[30:31], exec, s[0:1]
	s_cbranch_execz .LBB0_4
; %bb.3:                                ;   in Loop: Header=BB0_2 Depth=1
	v_cvt_f32_u32_e32 v1, s28
	v_cvt_f32_u32_e32 v6, s29
	s_sub_u32 s0, 0, s28
	s_subb_u32 s1, 0, s29
	v_mac_f32_e32 v1, 0x4f800000, v6
	v_rcp_f32_e32 v1, v1
	v_mul_f32_e32 v1, 0x5f7ffffc, v1
	v_mul_f32_e32 v6, 0x2f800000, v1
	v_trunc_f32_e32 v6, v6
	v_mac_f32_e32 v1, 0xcf800000, v6
	v_cvt_u32_f32_e32 v6, v6
	v_cvt_u32_f32_e32 v1, v1
	v_mul_lo_u32 v7, s0, v6
	v_mul_hi_u32 v9, s0, v1
	v_mul_lo_u32 v13, s1, v1
	v_mul_lo_u32 v12, s0, v1
	v_add_u32_e32 v7, v9, v7
	v_add_u32_e32 v7, v7, v13
	v_mul_hi_u32 v9, v1, v12
	v_mul_lo_u32 v13, v1, v7
	v_mul_hi_u32 v15, v1, v7
	v_mul_hi_u32 v14, v6, v12
	v_mul_lo_u32 v12, v6, v12
	v_mul_hi_u32 v16, v6, v7
	v_add_co_u32_e32 v9, vcc, v9, v13
	v_addc_co_u32_e32 v13, vcc, 0, v15, vcc
	v_mul_lo_u32 v7, v6, v7
	v_add_co_u32_e32 v9, vcc, v9, v12
	v_addc_co_u32_e32 v9, vcc, v13, v14, vcc
	v_addc_co_u32_e32 v12, vcc, 0, v16, vcc
	v_add_co_u32_e32 v7, vcc, v9, v7
	v_addc_co_u32_e32 v9, vcc, 0, v12, vcc
	v_add_co_u32_e32 v1, vcc, v1, v7
	v_addc_co_u32_e32 v6, vcc, v6, v9, vcc
	v_mul_lo_u32 v7, s0, v6
	v_mul_hi_u32 v9, s0, v1
	v_mul_lo_u32 v12, s1, v1
	v_mul_lo_u32 v13, s0, v1
	v_add_u32_e32 v7, v9, v7
	v_add_u32_e32 v7, v7, v12
	v_mul_lo_u32 v14, v1, v7
	v_mul_hi_u32 v15, v1, v13
	v_mul_hi_u32 v16, v1, v7
	;; [unrolled: 1-line block ×3, first 2 shown]
	v_mul_lo_u32 v13, v6, v13
	v_mul_hi_u32 v9, v6, v7
	v_add_co_u32_e32 v14, vcc, v15, v14
	v_addc_co_u32_e32 v15, vcc, 0, v16, vcc
	v_mul_lo_u32 v7, v6, v7
	v_add_co_u32_e32 v13, vcc, v14, v13
	v_addc_co_u32_e32 v12, vcc, v15, v12, vcc
	v_addc_co_u32_e32 v9, vcc, 0, v9, vcc
	v_add_co_u32_e32 v7, vcc, v12, v7
	v_addc_co_u32_e32 v9, vcc, 0, v9, vcc
	v_add_co_u32_e32 v1, vcc, v1, v7
	v_addc_co_u32_e32 v9, vcc, v6, v9, vcc
	v_mad_u64_u32 v[6:7], s[0:1], v10, v9, 0
	v_mul_hi_u32 v12, v10, v1
	v_add_co_u32_e32 v14, vcc, v12, v6
	v_addc_co_u32_e32 v15, vcc, 0, v7, vcc
	v_mad_u64_u32 v[6:7], s[0:1], v11, v1, 0
	v_mad_u64_u32 v[12:13], s[0:1], v11, v9, 0
	v_add_co_u32_e32 v1, vcc, v14, v6
	v_addc_co_u32_e32 v1, vcc, v15, v7, vcc
	v_addc_co_u32_e32 v6, vcc, 0, v13, vcc
	v_add_co_u32_e32 v1, vcc, v1, v12
	v_addc_co_u32_e32 v9, vcc, 0, v6, vcc
	v_mul_lo_u32 v12, s29, v1
	v_mul_lo_u32 v13, s28, v9
	v_mad_u64_u32 v[6:7], s[0:1], s28, v1, 0
	v_add3_u32 v7, v7, v13, v12
	v_sub_u32_e32 v12, v11, v7
	v_mov_b32_e32 v13, s29
	v_sub_co_u32_e32 v6, vcc, v10, v6
	v_subb_co_u32_e64 v12, s[0:1], v12, v13, vcc
	v_subrev_co_u32_e64 v13, s[0:1], s28, v6
	v_subbrev_co_u32_e64 v12, s[0:1], 0, v12, s[0:1]
	v_cmp_le_u32_e64 s[0:1], s29, v12
	v_cndmask_b32_e64 v14, 0, -1, s[0:1]
	v_cmp_le_u32_e64 s[0:1], s28, v13
	v_cndmask_b32_e64 v13, 0, -1, s[0:1]
	v_cmp_eq_u32_e64 s[0:1], s29, v12
	v_cndmask_b32_e64 v12, v14, v13, s[0:1]
	v_add_co_u32_e64 v13, s[0:1], 2, v1
	v_addc_co_u32_e64 v14, s[0:1], 0, v9, s[0:1]
	v_add_co_u32_e64 v15, s[0:1], 1, v1
	v_addc_co_u32_e64 v16, s[0:1], 0, v9, s[0:1]
	v_subb_co_u32_e32 v7, vcc, v11, v7, vcc
	v_cmp_ne_u32_e64 s[0:1], 0, v12
	v_cmp_le_u32_e32 vcc, s29, v7
	v_cndmask_b32_e64 v12, v16, v14, s[0:1]
	v_cndmask_b32_e64 v14, 0, -1, vcc
	v_cmp_le_u32_e32 vcc, s28, v6
	v_cndmask_b32_e64 v6, 0, -1, vcc
	v_cmp_eq_u32_e32 vcc, s29, v7
	v_cndmask_b32_e32 v6, v14, v6, vcc
	v_cmp_ne_u32_e32 vcc, 0, v6
	v_cndmask_b32_e64 v6, v15, v13, s[0:1]
	v_cndmask_b32_e32 v7, v9, v12, vcc
	v_cndmask_b32_e32 v6, v1, v6, vcc
.LBB0_4:                                ;   in Loop: Header=BB0_2 Depth=1
	s_andn2_saveexec_b64 s[0:1], s[30:31]
	s_cbranch_execz .LBB0_6
; %bb.5:                                ;   in Loop: Header=BB0_2 Depth=1
	v_cvt_f32_u32_e32 v1, s28
	s_sub_i32 s30, 0, s28
	v_rcp_iflag_f32_e32 v1, v1
	v_mul_f32_e32 v1, 0x4f7ffffe, v1
	v_cvt_u32_f32_e32 v1, v1
	v_mul_lo_u32 v6, s30, v1
	v_mul_hi_u32 v6, v1, v6
	v_add_u32_e32 v1, v1, v6
	v_mul_hi_u32 v1, v10, v1
	v_mul_lo_u32 v6, v1, s28
	v_add_u32_e32 v7, 1, v1
	v_sub_u32_e32 v6, v10, v6
	v_subrev_u32_e32 v9, s28, v6
	v_cmp_le_u32_e32 vcc, s28, v6
	v_cndmask_b32_e32 v6, v6, v9, vcc
	v_cndmask_b32_e32 v1, v1, v7, vcc
	v_add_u32_e32 v7, 1, v1
	v_cmp_le_u32_e32 vcc, s28, v6
	v_cndmask_b32_e32 v6, v1, v7, vcc
	v_mov_b32_e32 v7, v8
.LBB0_6:                                ;   in Loop: Header=BB0_2 Depth=1
	s_or_b64 exec, exec, s[0:1]
	v_mul_lo_u32 v1, v7, s28
	v_mul_lo_u32 v9, v6, s29
	v_mad_u64_u32 v[12:13], s[0:1], v6, s28, 0
	s_load_dwordx2 s[0:1], s[22:23], 0x0
	s_load_dwordx2 s[28:29], s[6:7], 0x0
	v_add3_u32 v1, v13, v9, v1
	v_sub_co_u32_e32 v9, vcc, v10, v12
	v_subb_co_u32_e32 v1, vcc, v11, v1, vcc
	s_waitcnt lgkmcnt(0)
	v_mul_lo_u32 v10, s0, v1
	v_mul_lo_u32 v11, s1, v9
	v_mad_u64_u32 v[2:3], s[0:1], s0, v9, v[2:3]
	s_add_u32 s26, s26, 1
	s_addc_u32 s27, s27, 0
	s_add_u32 s6, s6, 8
	v_mul_lo_u32 v1, s28, v1
	v_mul_lo_u32 v12, s29, v9
	v_mad_u64_u32 v[4:5], s[0:1], s28, v9, v[4:5]
	v_add3_u32 v3, v11, v3, v10
	s_addc_u32 s7, s7, 0
	v_mov_b32_e32 v9, s10
	s_add_u32 s22, s22, 8
	v_mov_b32_e32 v10, s11
	s_addc_u32 s23, s23, 0
	v_cmp_ge_u64_e32 vcc, s[26:27], v[9:10]
	s_add_u32 s24, s24, 8
	v_add3_u32 v5, v12, v5, v1
	s_addc_u32 s25, s25, 0
	s_cbranch_vccnz .LBB0_9
; %bb.7:                                ;   in Loop: Header=BB0_2 Depth=1
	v_mov_b32_e32 v11, v7
	v_mov_b32_e32 v10, v6
	s_branch .LBB0_2
.LBB0_8:
	v_mov_b32_e32 v5, v3
	v_mov_b32_e32 v6, v10
	;; [unrolled: 1-line block ×4, first 2 shown]
.LBB0_9:
	s_load_dwordx2 s[0:1], s[4:5], 0x28
	s_lshl_b64 s[10:11], s[10:11], 3
	s_add_u32 s4, s18, s10
	s_addc_u32 s5, s19, s11
                                        ; implicit-def: $vgpr26
                                        ; implicit-def: $vgpr27
	s_waitcnt lgkmcnt(0)
	v_cmp_gt_u64_e32 vcc, s[0:1], v[6:7]
	v_cmp_le_u64_e64 s[0:1], s[0:1], v[6:7]
	s_and_saveexec_b64 s[6:7], s[0:1]
	s_xor_b64 s[0:1], exec, s[6:7]
; %bb.10:
	s_mov_b32 s6, 0x10db20b
	v_mul_hi_u32 v1, v0, s6
                                        ; implicit-def: $vgpr2_vgpr3
	v_mul_u32_u24_e32 v1, 0xf3, v1
	v_sub_u32_e32 v26, v0, v1
	v_add_u32_e32 v27, 0xf3, v26
                                        ; implicit-def: $vgpr0
; %bb.11:
	s_or_saveexec_b64 s[6:7], s[0:1]
	s_load_dwordx2 s[4:5], s[4:5], 0x0
                                        ; implicit-def: $vgpr9
                                        ; implicit-def: $vgpr13
                                        ; implicit-def: $vgpr17
                                        ; implicit-def: $vgpr11
                                        ; implicit-def: $vgpr19
                                        ; implicit-def: $vgpr21
                                        ; implicit-def: $vgpr1
                                        ; implicit-def: $vgpr25
                                        ; implicit-def: $vgpr23
	s_xor_b64 exec, exec, s[6:7]
	s_cbranch_execz .LBB0_15
; %bb.12:
	s_add_u32 s0, s16, s10
	s_addc_u32 s1, s17, s11
	s_mov_b32 s10, 0x10db20b
	v_mul_hi_u32 v1, v0, s10
	s_load_dwordx2 s[0:1], s[0:1], 0x0
	v_mul_u32_u24_e32 v1, 0xf3, v1
	v_sub_u32_e32 v26, v0, v1
	s_waitcnt lgkmcnt(0)
	v_mul_lo_u32 v11, s1, v6
	v_mul_lo_u32 v12, s0, v7
	v_mad_u64_u32 v[0:1], s[0:1], s0, v6, 0
	v_mad_u64_u32 v[8:9], s[10:11], s20, v26, 0
	v_add3_u32 v1, v1, v12, v11
	v_lshlrev_b64 v[0:1], 3, v[0:1]
	v_mad_u64_u32 v[9:10], s[0:1], s21, v26, v[9:10]
	v_mov_b32_e32 v10, s13
	v_add_co_u32_e64 v0, s[0:1], s12, v0
	v_addc_co_u32_e64 v12, s[0:1], v10, v1, s[0:1]
	v_lshlrev_b64 v[1:2], 3, v[2:3]
	v_add_u32_e32 v3, 0x288, v26
	v_mad_u64_u32 v[10:11], s[0:1], s20, v3, 0
	v_add_co_u32_e64 v1, s[0:1], v0, v1
	v_mov_b32_e32 v0, v11
	v_addc_co_u32_e64 v2, s[0:1], v12, v2, s[0:1]
	v_mad_u64_u32 v[11:12], s[0:1], s21, v3, v[0:1]
	v_add_u32_e32 v3, 0x510, v26
	v_mad_u64_u32 v[12:13], s[0:1], s20, v3, 0
	v_lshlrev_b64 v[8:9], 3, v[8:9]
	v_add_u32_e32 v27, 0xf3, v26
	v_add_co_u32_e64 v14, s[0:1], v1, v8
	v_addc_co_u32_e64 v15, s[0:1], v2, v9, s[0:1]
	v_mov_b32_e32 v0, v13
	v_mad_u64_u32 v[16:17], s[0:1], s20, v27, 0
	v_lshlrev_b64 v[8:9], 3, v[10:11]
	v_mad_u64_u32 v[10:11], s[0:1], s21, v3, v[0:1]
	v_add_co_u32_e64 v18, s[0:1], v1, v8
	v_mov_b32_e32 v0, v17
	v_addc_co_u32_e64 v19, s[0:1], v2, v9, s[0:1]
	v_mov_b32_e32 v13, v10
	v_mad_u64_u32 v[10:11], s[0:1], s21, v27, v[0:1]
	v_add_u32_e32 v3, 0x37b, v26
	v_lshlrev_b64 v[8:9], 3, v[12:13]
	v_mad_u64_u32 v[11:12], s[0:1], s20, v3, 0
	v_add_co_u32_e64 v20, s[0:1], v1, v8
	v_mov_b32_e32 v17, v10
	v_addc_co_u32_e64 v21, s[0:1], v2, v9, s[0:1]
	v_lshlrev_b64 v[8:9], 3, v[16:17]
	v_mov_b32_e32 v0, v12
	v_mad_u64_u32 v[12:13], s[0:1], s21, v3, v[0:1]
	v_add_co_u32_e64 v22, s[0:1], v1, v8
	v_add_u32_e32 v3, 0x603, v26
	v_addc_co_u32_e64 v23, s[0:1], v2, v9, s[0:1]
	v_mad_u64_u32 v[24:25], s[0:1], s20, v3, 0
	v_lshlrev_b64 v[8:9], 3, v[11:12]
	v_add_co_u32_e64 v28, s[0:1], v1, v8
	v_mov_b32_e32 v0, v25
	v_addc_co_u32_e64 v29, s[0:1], v2, v9, s[0:1]
	v_mad_u64_u32 v[30:31], s[0:1], s21, v3, v[0:1]
	global_load_dwordx2 v[8:9], v[14:15], off
	global_load_dwordx2 v[12:13], v[18:19], off
	;; [unrolled: 1-line block ×4, first 2 shown]
                                        ; implicit-def: $vgpr22
                                        ; implicit-def: $vgpr0
	v_mov_b32_e32 v25, v30
	v_lshlrev_b64 v[14:15], 3, v[24:25]
                                        ; implicit-def: $vgpr24
	v_add_co_u32_e64 v14, s[0:1], v1, v14
	v_addc_co_u32_e64 v15, s[0:1], v2, v15, s[0:1]
	global_load_dwordx2 v[18:19], v[28:29], off
	global_load_dwordx2 v[20:21], v[14:15], off
	s_movk_i32 s0, 0xa2
	v_cmp_gt_u32_e64 s[0:1], s0, v26
	s_and_saveexec_b64 s[10:11], s[0:1]
	s_cbranch_execz .LBB0_14
; %bb.13:
	v_add_u32_e32 v3, 0x1e6, v26
	v_mad_u64_u32 v[14:15], s[0:1], s20, v3, 0
	v_add_u32_e32 v28, 0x46e, v26
	v_mad_u64_u32 v[22:23], s[0:1], s20, v28, 0
	v_mov_b32_e32 v0, v15
	v_mad_u64_u32 v[24:25], s[0:1], s21, v3, v[0:1]
	v_mov_b32_e32 v0, v23
	v_add_u32_e32 v3, 0x6f6, v26
	v_mov_b32_e32 v15, v24
	v_mad_u64_u32 v[23:24], s[0:1], s21, v28, v[0:1]
	v_mad_u64_u32 v[24:25], s[0:1], s20, v3, 0
	v_lshlrev_b64 v[14:15], 3, v[14:15]
	v_lshlrev_b64 v[22:23], 3, v[22:23]
	v_add_co_u32_e64 v14, s[0:1], v1, v14
	v_mov_b32_e32 v0, v25
	v_addc_co_u32_e64 v15, s[0:1], v2, v15, s[0:1]
	v_mad_u64_u32 v[28:29], s[0:1], s21, v3, v[0:1]
	v_add_co_u32_e64 v29, s[0:1], v1, v22
	v_mov_b32_e32 v25, v28
	v_addc_co_u32_e64 v30, s[0:1], v2, v23, s[0:1]
	v_lshlrev_b64 v[22:23], 3, v[24:25]
	v_add_co_u32_e64 v31, s[0:1], v1, v22
	v_addc_co_u32_e64 v32, s[0:1], v2, v23, s[0:1]
	global_load_dwordx2 v[0:1], v[14:15], off
	global_load_dwordx2 v[22:23], v[29:30], off
	;; [unrolled: 1-line block ×3, first 2 shown]
.LBB0_14:
	s_or_b64 exec, exec, s[10:11]
.LBB0_15:
	s_or_b64 exec, exec, s[6:7]
	s_waitcnt vmcnt(3)
	v_add_f32_e32 v3, v12, v16
	v_add_f32_e32 v2, v8, v12
	v_fmac_f32_e32 v8, -0.5, v3
	v_sub_f32_e32 v3, v13, v17
	v_mov_b32_e32 v14, v8
	s_waitcnt vmcnt(0)
	v_add_f32_e32 v15, v18, v20
	v_fmac_f32_e32 v14, 0x3f5db3d7, v3
	v_fmac_f32_e32 v8, 0xbf5db3d7, v3
	v_add_f32_e32 v3, v10, v18
	v_fmac_f32_e32 v10, -0.5, v15
	v_sub_f32_e32 v15, v19, v21
	v_mov_b32_e32 v28, v10
	v_fmac_f32_e32 v28, 0x3f5db3d7, v15
	v_fmac_f32_e32 v10, 0xbf5db3d7, v15
	v_add_f32_e32 v15, v0, v22
	v_add_f32_e32 v29, v24, v15
	;; [unrolled: 1-line block ×3, first 2 shown]
	v_fmac_f32_e32 v0, -0.5, v15
	v_sub_f32_e32 v15, v23, v25
	v_mov_b32_e32 v30, v0
	s_movk_i32 s0, 0xa2
	v_add_f32_e32 v2, v2, v16
	v_add_f32_e32 v3, v3, v20
	v_fmac_f32_e32 v30, 0x3f5db3d7, v15
	v_fmac_f32_e32 v0, 0xbf5db3d7, v15
	v_mad_u32_u24 v34, v26, 12, 0
	v_mad_i32_i24 v33, v27, 12, 0
	v_cmp_gt_u32_e64 s[0:1], s0, v26
	ds_write2_b32 v34, v2, v14 offset1:1
	ds_write_b32 v34, v8 offset:8
	ds_write2_b32 v33, v3, v28 offset1:1
	ds_write_b32 v33, v10 offset:8
	s_and_saveexec_b64 s[6:7], s[0:1]
	s_cbranch_execz .LBB0_17
; %bb.16:
	v_add_u32_e32 v2, 0x16c8, v34
	ds_write2_b32 v2, v29, v30 offset1:1
	ds_write_b32 v34, v0 offset:5840
.LBB0_17:
	s_or_b64 exec, exec, s[6:7]
	v_lshlrev_b32_e32 v10, 3, v26
	v_sub_u32_e32 v28, v34, v10
	v_add_u32_e32 v8, 0x1440, v28
	s_waitcnt lgkmcnt(0)
	s_barrier
	ds_read2_b32 v[14:15], v8 offset1:243
	v_lshlrev_b32_e32 v8, 3, v27
	v_add_u32_e32 v2, 0xa00, v28
	v_sub_u32_e32 v31, v33, v8
	ds_read2_b32 v[2:3], v2 offset0:8 offset1:251
	ds_read_b32 v32, v28
	ds_read_b32 v31, v31
	v_sub_u32_e32 v10, 0, v10
	v_add_u32_e32 v28, v34, v10
	s_and_saveexec_b64 s[6:7], s[0:1]
	s_cbranch_execz .LBB0_19
; %bb.18:
	ds_read_b32 v29, v28 offset:1944
	ds_read_b32 v30, v28 offset:4536
	;; [unrolled: 1-line block ×3, first 2 shown]
.LBB0_19:
	s_or_b64 exec, exec, s[6:7]
	v_add_f32_e32 v10, v13, v17
	v_sub_u32_e32 v35, 0, v8
	v_add_f32_e32 v8, v9, v13
	v_fmac_f32_e32 v9, -0.5, v10
	v_sub_f32_e32 v10, v12, v16
	v_mov_b32_e32 v16, v9
	v_add_f32_e32 v12, v19, v21
	v_fmac_f32_e32 v16, 0xbf5db3d7, v10
	v_fmac_f32_e32 v9, 0x3f5db3d7, v10
	v_add_f32_e32 v10, v11, v19
	v_fmac_f32_e32 v11, -0.5, v12
	v_add_f32_e32 v8, v8, v17
	v_sub_f32_e32 v12, v18, v20
	v_mov_b32_e32 v17, v11
	v_fmac_f32_e32 v17, 0xbf5db3d7, v12
	v_fmac_f32_e32 v11, 0x3f5db3d7, v12
	v_add_f32_e32 v12, v1, v23
	v_add_f32_e32 v13, v25, v12
	;; [unrolled: 1-line block ×3, first 2 shown]
	v_fmac_f32_e32 v1, -0.5, v12
	v_sub_f32_e32 v18, v22, v24
	v_mov_b32_e32 v12, v1
	v_fmac_f32_e32 v12, 0xbf5db3d7, v18
	v_fmac_f32_e32 v1, 0x3f5db3d7, v18
	v_add_f32_e32 v10, v10, v21
	s_waitcnt lgkmcnt(0)
	s_barrier
	ds_write2_b32 v34, v8, v16 offset1:1
	ds_write_b32 v34, v9 offset:8
	ds_write2_b32 v33, v10, v17 offset1:1
	ds_write_b32 v33, v11 offset:8
	s_and_saveexec_b64 s[6:7], s[0:1]
	s_cbranch_execz .LBB0_21
; %bb.20:
	v_add_u32_e32 v8, 0x16c8, v34
	ds_write2_b32 v8, v13, v12 offset1:1
	ds_write_b32 v34, v1 offset:5840
.LBB0_21:
	s_or_b64 exec, exec, s[6:7]
	v_add_u32_e32 v8, 0xa00, v28
	v_add_u32_e32 v10, 0x1440, v28
	s_waitcnt lgkmcnt(0)
	s_barrier
	ds_read2_b32 v[8:9], v8 offset0:8 offset1:251
	ds_read2_b32 v[10:11], v10 offset1:243
	v_add_u32_e32 v17, v33, v35
	ds_read_b32 v20, v28
	ds_read_b32 v19, v17
	s_and_saveexec_b64 s[6:7], s[0:1]
	s_cbranch_execz .LBB0_23
; %bb.22:
	ds_read_b32 v13, v28 offset:1944
	ds_read_b32 v12, v28 offset:4536
	;; [unrolled: 1-line block ×3, first 2 shown]
.LBB0_23:
	s_or_b64 exec, exec, s[6:7]
	s_movk_i32 s6, 0xab
	v_mul_lo_u16_sdwa v16, v26, s6 dst_sel:DWORD dst_unused:UNUSED_PAD src0_sel:BYTE_0 src1_sel:DWORD
	s_mov_b32 s6, 0xaaab
	v_lshrrev_b16_e32 v18, 9, v16
	v_mul_u32_u24_sdwa v22, v27, s6 dst_sel:DWORD dst_unused:UNUSED_PAD src0_sel:WORD_0 src1_sel:DWORD
	v_mul_lo_u16_e32 v16, 3, v18
	v_lshrrev_b32_e32 v22, 17, v22
	v_sub_u16_e32 v21, v26, v16
	v_mov_b32_e32 v16, 4
	v_mul_lo_u16_e32 v23, 3, v22
	v_lshlrev_b32_sdwa v16, v16, v21 dst_sel:DWORD dst_unused:UNUSED_PAD src0_sel:DWORD src1_sel:BYTE_0
	v_sub_u16_e32 v23, v27, v23
	v_lshlrev_b32_e32 v24, 4, v23
	global_load_dwordx4 v[40:43], v16, s[8:9]
	global_load_dwordx4 v[44:47], v24, s[8:9]
	v_add_u32_e32 v16, 0x1e6, v26
	v_mul_u32_u24_sdwa v24, v16, s6 dst_sel:DWORD dst_unused:UNUSED_PAD src0_sel:WORD_0 src1_sel:DWORD
	v_lshrrev_b32_e32 v24, 17, v24
	v_mul_lo_u16_e32 v25, 3, v24
	v_sub_u16_e32 v52, v16, v25
	v_lshlrev_b32_e32 v25, 4, v52
	global_load_dwordx4 v[48:51], v25, s[8:9]
	v_mov_b32_e32 v25, 2
	v_mul_u32_u24_e32 v18, 36, v18
	v_mul_u32_u24_e32 v22, 36, v22
	v_lshlrev_b32_sdwa v21, v25, v21 dst_sel:DWORD dst_unused:UNUSED_PAD src0_sel:DWORD src1_sel:BYTE_0
	v_lshlrev_b32_e32 v23, 2, v23
	v_add3_u32 v33, 0, v18, v21
	v_add3_u32 v25, 0, v22, v23
	v_mul_lo_u16_e32 v24, 9, v24
	s_waitcnt vmcnt(0) lgkmcnt(0)
	s_barrier
	v_mul_f32_e32 v18, v8, v41
	v_mul_f32_e32 v36, v2, v41
	;; [unrolled: 1-line block ×9, first 2 shown]
	v_fma_f32 v39, v2, v40, -v18
	v_fmac_f32_e32 v36, v8, v40
	v_fma_f32 v40, v14, v42, -v21
	v_mul_f32_e32 v2, v1, v51
	v_fma_f32 v14, v3, v44, -v22
	v_fma_f32 v38, v15, v46, -v38
	v_fmac_f32_e32 v37, v10, v42
	v_mul_f32_e32 v8, v0, v51
	v_fmac_f32_e32 v34, v9, v44
	v_fmac_f32_e32 v35, v11, v46
	v_fma_f32 v9, v30, v48, -v41
	v_fma_f32 v10, v0, v50, -v2
	v_add_f32_e32 v11, v14, v38
	v_mul_f32_e32 v23, v30, v49
	v_fmac_f32_e32 v8, v1, v50
	v_add_f32_e32 v1, v39, v40
	v_add_f32_e32 v3, v31, v14
	v_add_f32_e32 v18, v9, v10
	v_fmac_f32_e32 v31, -0.5, v11
	v_fmac_f32_e32 v23, v12, v48
	v_add_f32_e32 v0, v32, v39
	v_sub_f32_e32 v2, v36, v37
	v_sub_f32_e32 v15, v34, v35
	v_add_f32_e32 v12, v29, v9
	v_fmac_f32_e32 v32, -0.5, v1
	v_fmac_f32_e32 v29, -0.5, v18
	v_mov_b32_e32 v11, v31
	v_sub_f32_e32 v21, v23, v8
	v_add_f32_e32 v1, v3, v38
	v_mov_b32_e32 v3, v32
	v_fmac_f32_e32 v32, 0xbf5db3d7, v2
	v_mov_b32_e32 v22, v29
	v_fmac_f32_e32 v11, 0x3f5db3d7, v15
	v_add_f32_e32 v0, v0, v40
	v_add_f32_e32 v12, v12, v10
	v_fmac_f32_e32 v31, 0xbf5db3d7, v15
	v_fmac_f32_e32 v29, 0xbf5db3d7, v21
	v_fmac_f32_e32 v3, 0x3f5db3d7, v2
	v_fmac_f32_e32 v22, 0x3f5db3d7, v21
	ds_write_b32 v33, v32 offset:24
	ds_write2_b32 v33, v0, v3 offset1:3
	ds_write2_b32 v25, v1, v11 offset1:3
	ds_write_b32 v25, v31 offset:24
	v_lshlrev_b32_e32 v11, 2, v52
	s_and_saveexec_b64 s[6:7], s[0:1]
	s_cbranch_execz .LBB0_25
; %bb.24:
	v_lshlrev_b32_e32 v0, 2, v24
	v_add3_u32 v0, 0, v11, v0
	ds_write2_b32 v0, v12, v22 offset1:3
	ds_write_b32 v0, v29 offset:24
.LBB0_25:
	s_or_b64 exec, exec, s[6:7]
	v_add_u32_e32 v0, 0xa00, v28
	v_add_u32_e32 v2, 0x1440, v28
	s_waitcnt lgkmcnt(0)
	s_barrier
	ds_read2_b32 v[0:1], v0 offset0:8 offset1:251
	ds_read2_b32 v[2:3], v2 offset1:243
	ds_read_b32 v21, v28
	ds_read_b32 v15, v17
	v_lshl_add_u32 v18, v26, 2, 0
	s_and_saveexec_b64 s[6:7], s[0:1]
	s_cbranch_execz .LBB0_27
; %bb.26:
	ds_read_b32 v22, v28 offset:4536
	ds_read_b32 v12, v18 offset:1944
	;; [unrolled: 1-line block ×3, first 2 shown]
.LBB0_27:
	s_or_b64 exec, exec, s[6:7]
	v_add_f32_e32 v31, v36, v37
	v_add_f32_e32 v30, v20, v36
	v_fmac_f32_e32 v20, -0.5, v31
	v_sub_f32_e32 v31, v39, v40
	v_mov_b32_e32 v32, v20
	v_fmac_f32_e32 v32, 0xbf5db3d7, v31
	v_fmac_f32_e32 v20, 0x3f5db3d7, v31
	v_add_f32_e32 v31, v19, v34
	v_add_f32_e32 v34, v34, v35
	v_fmac_f32_e32 v19, -0.5, v34
	v_sub_f32_e32 v14, v14, v38
	v_mov_b32_e32 v34, v19
	v_fmac_f32_e32 v34, 0xbf5db3d7, v14
	v_fmac_f32_e32 v19, 0x3f5db3d7, v14
	v_add_f32_e32 v14, v13, v23
	v_add_f32_e32 v14, v14, v8
	;; [unrolled: 1-line block ×3, first 2 shown]
	v_fmac_f32_e32 v13, -0.5, v8
	v_sub_f32_e32 v8, v9, v10
	v_mov_b32_e32 v23, v13
	v_add_f32_e32 v30, v30, v37
	v_fmac_f32_e32 v23, 0xbf5db3d7, v8
	v_fmac_f32_e32 v13, 0x3f5db3d7, v8
	v_add_f32_e32 v31, v31, v35
	s_waitcnt lgkmcnt(0)
	s_barrier
	ds_write2_b32 v33, v30, v32 offset1:3
	ds_write_b32 v33, v20 offset:24
	ds_write2_b32 v25, v31, v34 offset1:3
	ds_write_b32 v25, v19 offset:24
	s_and_saveexec_b64 s[6:7], s[0:1]
	s_cbranch_execz .LBB0_29
; %bb.28:
	v_lshlrev_b32_e32 v8, 2, v24
	v_add3_u32 v8, 0, v11, v8
	ds_write2_b32 v8, v14, v23 offset1:3
	ds_write_b32 v8, v13 offset:24
.LBB0_29:
	s_or_b64 exec, exec, s[6:7]
	v_add_u32_e32 v8, 0xa00, v28
	v_add_u32_e32 v10, 0x1440, v28
	s_waitcnt lgkmcnt(0)
	s_barrier
	ds_read2_b32 v[8:9], v8 offset0:8 offset1:251
	ds_read2_b32 v[10:11], v10 offset1:243
	ds_read_b32 v20, v28
	ds_read_b32 v19, v17
	s_and_saveexec_b64 s[6:7], s[0:1]
	s_cbranch_execz .LBB0_31
; %bb.30:
	ds_read_b32 v23, v28 offset:4536
	ds_read_b32 v14, v18 offset:1944
	;; [unrolled: 1-line block ×3, first 2 shown]
.LBB0_31:
	s_or_b64 exec, exec, s[6:7]
	v_mov_b32_e32 v24, 57
	v_mul_lo_u16_sdwa v24, v26, v24 dst_sel:DWORD dst_unused:UNUSED_PAD src0_sel:BYTE_0 src1_sel:DWORD
	v_lshrrev_b16_e32 v24, 9, v24
	v_mul_lo_u16_e32 v25, 9, v24
	s_mov_b32 s6, 0xe38f
	v_sub_u16_e32 v25, v26, v25
	v_mov_b32_e32 v30, 4
	v_mul_u32_u24_sdwa v31, v27, s6 dst_sel:DWORD dst_unused:UNUSED_PAD src0_sel:WORD_0 src1_sel:DWORD
	v_lshlrev_b32_sdwa v30, v30, v25 dst_sel:DWORD dst_unused:UNUSED_PAD src0_sel:DWORD src1_sel:BYTE_0
	v_lshrrev_b32_e32 v31, 19, v31
	global_load_dwordx4 v[39:42], v30, s[8:9] offset:48
	v_mul_lo_u16_e32 v30, 9, v31
	v_mul_u32_u24_sdwa v32, v16, s6 dst_sel:DWORD dst_unused:UNUSED_PAD src0_sel:WORD_0 src1_sel:DWORD
	v_sub_u16_e32 v30, v27, v30
	v_lshrrev_b32_e32 v32, 19, v32
	v_lshlrev_b32_e32 v33, 4, v30
	global_load_dwordx4 v[43:46], v33, s[8:9] offset:48
	v_mul_lo_u16_e32 v33, 9, v32
	v_sub_u16_e32 v51, v16, v33
	v_lshlrev_b32_e32 v33, 4, v51
	global_load_dwordx4 v[47:50], v33, s[8:9] offset:48
	v_mov_b32_e32 v33, 2
	v_mul_u32_u24_e32 v34, 0x6c, v24
	v_mul_u32_u24_e32 v31, 0x6c, v31
	v_mul_lo_u16_e32 v24, 27, v32
	v_lshlrev_b32_sdwa v25, v33, v25 dst_sel:DWORD dst_unused:UNUSED_PAD src0_sel:DWORD src1_sel:BYTE_0
	v_lshlrev_b32_e32 v32, 2, v30
	v_add3_u32 v30, 0, v34, v25
	v_add3_u32 v25, 0, v31, v32
	s_waitcnt vmcnt(0) lgkmcnt(0)
	s_barrier
	v_mul_f32_e32 v37, v8, v40
	v_mul_f32_e32 v35, v0, v40
	;; [unrolled: 1-line block ×4, first 2 shown]
	v_fma_f32 v38, v0, v39, -v37
	v_fmac_f32_e32 v36, v10, v41
	v_mul_f32_e32 v42, v9, v44
	v_mul_f32_e32 v32, v1, v44
	;; [unrolled: 1-line block ×7, first 2 shown]
	v_fma_f32 v10, v1, v43, -v42
	v_fma_f32 v37, v3, v45, -v44
	v_fmac_f32_e32 v35, v8, v39
	v_fma_f32 v39, v2, v41, -v40
	v_fmac_f32_e32 v32, v9, v43
	v_fmac_f32_e32 v34, v11, v45
	v_fma_f32 v8, v22, v47, -v46
	v_fma_f32 v9, v29, v49, -v48
	v_add_f32_e32 v11, v10, v37
	v_mul_f32_e32 v33, v29, v50
	v_add_f32_e32 v1, v38, v39
	v_add_f32_e32 v3, v15, v10
	;; [unrolled: 1-line block ×3, first 2 shown]
	v_fmac_f32_e32 v15, -0.5, v11
	v_fmac_f32_e32 v31, v23, v47
	v_fmac_f32_e32 v33, v13, v49
	v_add_f32_e32 v0, v21, v38
	v_sub_f32_e32 v2, v35, v36
	v_sub_f32_e32 v23, v32, v34
	v_add_f32_e32 v13, v12, v8
	v_fmac_f32_e32 v21, -0.5, v1
	v_fmac_f32_e32 v12, -0.5, v22
	v_mov_b32_e32 v11, v15
	v_sub_f32_e32 v29, v31, v33
	v_add_f32_e32 v1, v3, v37
	v_mov_b32_e32 v3, v21
	v_fmac_f32_e32 v21, 0xbf5db3d7, v2
	v_mov_b32_e32 v22, v12
	v_fmac_f32_e32 v11, 0x3f5db3d7, v23
	v_add_f32_e32 v0, v0, v39
	v_add_f32_e32 v13, v13, v9
	v_fmac_f32_e32 v15, 0xbf5db3d7, v23
	v_fmac_f32_e32 v12, 0xbf5db3d7, v29
	;; [unrolled: 1-line block ×4, first 2 shown]
	ds_write_b32 v30, v21 offset:72
	ds_write2_b32 v30, v0, v3 offset1:9
	ds_write2_b32 v25, v1, v11 offset1:9
	ds_write_b32 v25, v15 offset:72
	v_lshlrev_b32_e32 v11, 2, v51
	s_and_saveexec_b64 s[6:7], s[0:1]
	s_cbranch_execz .LBB0_33
; %bb.32:
	v_lshlrev_b32_e32 v0, 2, v24
	v_add3_u32 v0, 0, v11, v0
	ds_write2_b32 v0, v13, v22 offset1:9
	ds_write_b32 v0, v12 offset:72
.LBB0_33:
	s_or_b64 exec, exec, s[6:7]
	v_add_u32_e32 v0, 0xa00, v28
	v_add_u32_e32 v2, 0x1440, v28
	s_waitcnt lgkmcnt(0)
	s_barrier
	ds_read2_b32 v[0:1], v0 offset0:8 offset1:251
	ds_read2_b32 v[2:3], v2 offset1:243
	ds_read_b32 v23, v28
	ds_read_b32 v21, v17
	s_and_saveexec_b64 s[6:7], s[0:1]
	s_cbranch_execz .LBB0_35
; %bb.34:
	ds_read_b32 v22, v28 offset:4536
	ds_read_b32 v13, v18 offset:1944
	;; [unrolled: 1-line block ×3, first 2 shown]
.LBB0_35:
	s_or_b64 exec, exec, s[6:7]
	v_add_f32_e32 v15, v20, v35
	v_add_f32_e32 v40, v15, v36
	v_add_f32_e32 v15, v35, v36
	v_fmac_f32_e32 v20, -0.5, v15
	v_sub_f32_e32 v15, v38, v39
	v_mov_b32_e32 v35, v20
	v_fmac_f32_e32 v35, 0xbf5db3d7, v15
	v_fmac_f32_e32 v20, 0x3f5db3d7, v15
	v_add_f32_e32 v15, v19, v32
	v_add_f32_e32 v36, v15, v34
	v_add_f32_e32 v15, v32, v34
	v_fmac_f32_e32 v19, -0.5, v15
	v_sub_f32_e32 v10, v10, v37
	v_mov_b32_e32 v32, v19
	v_fmac_f32_e32 v32, 0xbf5db3d7, v10
	v_fmac_f32_e32 v19, 0x3f5db3d7, v10
	v_add_f32_e32 v10, v14, v31
	v_add_f32_e32 v15, v10, v33
	v_add_f32_e32 v10, v31, v33
	v_fmac_f32_e32 v14, -0.5, v10
	v_sub_f32_e32 v8, v8, v9
	v_mov_b32_e32 v29, v14
	v_fmac_f32_e32 v29, 0xbf5db3d7, v8
	v_fmac_f32_e32 v14, 0x3f5db3d7, v8
	s_waitcnt lgkmcnt(0)
	s_barrier
	ds_write2_b32 v30, v40, v35 offset1:9
	ds_write_b32 v30, v20 offset:72
	ds_write2_b32 v25, v36, v32 offset1:9
	ds_write_b32 v25, v19 offset:72
	s_and_saveexec_b64 s[6:7], s[0:1]
	s_cbranch_execz .LBB0_37
; %bb.36:
	v_lshlrev_b32_e32 v8, 2, v24
	v_add3_u32 v8, 0, v11, v8
	ds_write2_b32 v8, v15, v29 offset1:9
	ds_write_b32 v8, v14 offset:72
.LBB0_37:
	s_or_b64 exec, exec, s[6:7]
	v_add_u32_e32 v8, 0xa00, v28
	v_add_u32_e32 v10, 0x1440, v28
	s_waitcnt lgkmcnt(0)
	s_barrier
	ds_read2_b32 v[8:9], v8 offset0:8 offset1:251
	ds_read2_b32 v[10:11], v10 offset1:243
	ds_read_b32 v25, v28
	ds_read_b32 v24, v17
	s_and_saveexec_b64 s[6:7], s[0:1]
	s_cbranch_execz .LBB0_39
; %bb.38:
	ds_read_b32 v29, v28 offset:4536
	ds_read_b32 v15, v18 offset:1944
	;; [unrolled: 1-line block ×3, first 2 shown]
.LBB0_39:
	s_or_b64 exec, exec, s[6:7]
	v_mov_b32_e32 v19, 19
	v_mul_lo_u16_sdwa v19, v26, v19 dst_sel:DWORD dst_unused:UNUSED_PAD src0_sel:BYTE_0 src1_sel:DWORD
	v_lshrrev_b16_e32 v19, 9, v19
	s_movk_i32 s6, 0x2f69
	v_mul_lo_u16_e32 v20, 27, v19
	v_mul_u32_u24_sdwa v31, v27, s6 dst_sel:DWORD dst_unused:UNUSED_PAD src0_sel:WORD_0 src1_sel:DWORD
	v_sub_u16_e32 v20, v26, v20
	v_mov_b32_e32 v30, 4
	v_sub_u16_sdwa v32, v27, v31 dst_sel:DWORD dst_unused:UNUSED_PAD src0_sel:DWORD src1_sel:WORD_1
	v_lshlrev_b32_sdwa v30, v30, v20 dst_sel:DWORD dst_unused:UNUSED_PAD src0_sel:DWORD src1_sel:BYTE_0
	v_lshrrev_b16_e32 v32, 1, v32
	global_load_dwordx4 v[34:37], v30, s[8:9] offset:192
	v_add_u16_sdwa v30, v32, v31 dst_sel:DWORD dst_unused:UNUSED_PAD src0_sel:DWORD src1_sel:WORD_1
	v_lshrrev_b16_e32 v32, 4, v30
	v_mul_lo_u16_e32 v30, 27, v32
	v_sub_u16_e32 v33, v27, v30
	v_lshlrev_b32_e32 v30, 4, v33
	global_load_dwordx4 v[38:41], v30, s[8:9] offset:192
	v_mul_u32_u24_sdwa v30, v16, s6 dst_sel:DWORD dst_unused:UNUSED_PAD src0_sel:WORD_0 src1_sel:DWORD
	v_sub_u16_sdwa v31, v16, v30 dst_sel:DWORD dst_unused:UNUSED_PAD src0_sel:DWORD src1_sel:WORD_1
	v_lshrrev_b16_e32 v31, 1, v31
	v_add_u16_sdwa v30, v31, v30 dst_sel:DWORD dst_unused:UNUSED_PAD src0_sel:DWORD src1_sel:WORD_1
	v_lshrrev_b16_e32 v30, 4, v30
	v_mul_lo_u16_e32 v31, 27, v30
	v_sub_u16_e32 v46, v16, v31
	v_lshlrev_b32_e32 v31, 4, v46
	global_load_dwordx4 v[42:45], v31, s[8:9] offset:192
	v_mov_b32_e32 v31, 2
	v_mul_u32_u24_e32 v19, 0x144, v19
	v_lshlrev_b32_sdwa v20, v31, v20 dst_sel:DWORD dst_unused:UNUSED_PAD src0_sel:DWORD src1_sel:BYTE_0
	v_add3_u32 v31, 0, v19, v20
	v_mul_u32_u24_e32 v19, 0x144, v32
	v_lshlrev_b32_e32 v20, 2, v33
	v_add3_u32 v32, 0, v19, v20
	s_waitcnt vmcnt(0) lgkmcnt(0)
	s_barrier
	v_mul_f32_e32 v19, v8, v35
	v_mul_f32_e32 v33, v0, v35
	;; [unrolled: 1-line block ×4, first 2 shown]
	v_fma_f32 v20, v0, v34, -v19
	v_fmac_f32_e32 v33, v8, v34
	v_fma_f32 v34, v2, v36, -v47
	v_fmac_f32_e32 v35, v10, v36
	v_add_f32_e32 v36, v20, v34
	v_mul_f32_e32 v37, v9, v39
	v_mul_f32_e32 v8, v1, v39
	;; [unrolled: 1-line block ×3, first 2 shown]
	v_add_f32_e32 v19, v23, v20
	v_mul_f32_e32 v10, v3, v41
	v_fmac_f32_e32 v23, -0.5, v36
	v_mul_f32_e32 v41, v29, v43
	v_mul_f32_e32 v0, v22, v43
	;; [unrolled: 1-line block ×4, first 2 shown]
	v_fma_f32 v36, v1, v38, -v37
	v_fma_f32 v37, v3, v40, -v39
	v_sub_f32_e32 v47, v33, v35
	v_fmac_f32_e32 v8, v9, v38
	v_fma_f32 v3, v22, v42, -v41
	v_fma_f32 v9, v12, v44, -v43
	v_fmac_f32_e32 v2, v14, v44
	v_mov_b32_e32 v1, v23
	v_add_f32_e32 v14, v36, v37
	v_add_f32_e32 v19, v19, v34
	v_fmac_f32_e32 v10, v11, v40
	v_fmac_f32_e32 v0, v29, v42
	;; [unrolled: 1-line block ×4, first 2 shown]
	v_add_f32_e32 v12, v21, v36
	v_add_f32_e32 v29, v3, v9
	v_fmac_f32_e32 v21, -0.5, v14
	v_sub_f32_e32 v22, v8, v10
	ds_write_b32 v31, v23 offset:216
	v_add_f32_e32 v23, v12, v37
	v_fma_f32 v12, -0.5, v29, v13
	ds_write2_b32 v31, v19, v1 offset1:27
	v_mov_b32_e32 v1, v21
	v_sub_f32_e32 v11, v0, v2
	v_fmac_f32_e32 v21, 0xbf5db3d7, v22
	v_mov_b32_e32 v19, v12
	v_fmac_f32_e32 v1, 0x3f5db3d7, v22
	v_fmac_f32_e32 v19, 0xbf5db3d7, v11
	ds_write_b32 v32, v21 offset:216
	ds_write2_b32 v32, v23, v1 offset1:27
	v_lshlrev_b32_e32 v1, 2, v46
	s_and_saveexec_b64 s[6:7], s[0:1]
	s_cbranch_execz .LBB0_41
; %bb.40:
	v_mul_f32_e32 v11, 0x3f5db3d7, v11
	v_add_f32_e32 v11, v11, v12
	v_add_f32_e32 v12, v13, v3
	v_mul_lo_u16_e32 v13, 0x51, v30
	v_lshlrev_b32_e32 v13, 2, v13
	v_add_f32_e32 v12, v12, v9
	v_add3_u32 v13, 0, v1, v13
	ds_write2_b32 v13, v12, v11 offset1:27
	ds_write_b32 v13, v19 offset:216
.LBB0_41:
	s_or_b64 exec, exec, s[6:7]
	v_add_f32_e32 v11, v25, v33
	v_add_f32_e32 v22, v11, v35
	;; [unrolled: 1-line block ×3, first 2 shown]
	v_fmac_f32_e32 v25, -0.5, v11
	v_sub_f32_e32 v11, v20, v34
	v_mov_b32_e32 v34, v25
	v_fmac_f32_e32 v34, 0xbf5db3d7, v11
	v_fmac_f32_e32 v25, 0x3f5db3d7, v11
	v_add_f32_e32 v11, v24, v8
	v_add_f32_e32 v8, v8, v10
	v_fmac_f32_e32 v24, -0.5, v8
	v_sub_f32_e32 v8, v36, v37
	v_mov_b32_e32 v36, v24
	s_waitcnt lgkmcnt(0)
	s_barrier
	ds_read_b32 v21, v18 offset:1944
	ds_read_b32 v23, v28 offset:6804
	ds_read_b32 v14, v28
	ds_read_b32 v29, v17
	v_add_f32_e32 v35, v11, v10
	v_fmac_f32_e32 v36, 0xbf5db3d7, v8
	v_fmac_f32_e32 v24, 0x3f5db3d7, v8
	v_add_f32_e32 v8, v0, v2
	v_add_u32_e32 v10, 0xb40, v28
	v_add_u32_e32 v33, 0x12e0, v28
	v_fma_f32 v11, -0.5, v8, v15
	v_sub_f32_e32 v3, v3, v9
	ds_read2_b32 v[8:9], v10 offset0:9 offset1:252
	ds_read2_b32 v[12:13], v33 offset0:7 offset1:250
	v_mov_b32_e32 v20, v11
	v_fmac_f32_e32 v20, 0x3f5db3d7, v3
	s_waitcnt lgkmcnt(0)
	s_barrier
	ds_write2_b32 v31, v22, v34 offset1:27
	ds_write_b32 v31, v25 offset:216
	ds_write2_b32 v32, v35, v36 offset1:27
	ds_write_b32 v32, v24 offset:216
	s_and_saveexec_b64 s[6:7], s[0:1]
	s_cbranch_execz .LBB0_43
; %bb.42:
	v_mul_f32_e32 v3, 0x3f5db3d7, v3
	v_add_f32_e32 v0, v15, v0
	v_add_f32_e32 v0, v0, v2
	v_sub_f32_e32 v2, v11, v3
	v_mul_lo_u16_e32 v3, 0x51, v30
	v_lshlrev_b32_e32 v3, 2, v3
	v_add3_u32 v1, 0, v1, v3
	ds_write2_b32 v1, v0, v2 offset1:27
	ds_write_b32 v1, v20 offset:216
.LBB0_43:
	s_or_b64 exec, exec, s[6:7]
	s_movk_i32 s6, 0xcb
	v_mul_lo_u16_sdwa v0, v26, s6 dst_sel:DWORD dst_unused:UNUSED_PAD src0_sel:BYTE_0 src1_sel:DWORD
	v_lshrrev_b16_e32 v15, 14, v0
	v_mul_lo_u16_e32 v0, 0x51, v15
	v_sub_u16_e32 v24, v26, v0
	v_mov_b32_e32 v0, 7
	v_mul_u32_u24_sdwa v0, v24, v0 dst_sel:DWORD dst_unused:UNUSED_PAD src0_sel:BYTE_0 src1_sel:DWORD
	v_lshlrev_b32_e32 v11, 3, v0
	s_waitcnt lgkmcnt(0)
	s_barrier
	global_load_dwordx4 v[34:37], v11, s[8:9] offset:656
	global_load_dwordx4 v[38:41], v11, s[8:9] offset:624
	;; [unrolled: 1-line block ×3, first 2 shown]
	global_load_dwordx2 v[42:43], v11, s[8:9] offset:672
	ds_read_b32 v22, v28
	ds_read_b32 v46, v17
	ds_read2_b32 v[10:11], v10 offset0:9 offset1:252
	ds_read2_b32 v[44:45], v33 offset0:7 offset1:250
	ds_read_b32 v33, v18 offset:1944
	ds_read_b32 v47, v28 offset:6804
	v_mov_b32_e32 v25, 2
	v_mul_u32_u24_e32 v15, 0xa20, v15
	v_lshlrev_b32_sdwa v24, v25, v24 dst_sel:DWORD dst_unused:UNUSED_PAD src0_sel:DWORD src1_sel:BYTE_0
	v_add3_u32 v25, 0, v15, v24
	v_add_u32_e32 v31, 0x600, v25
	s_waitcnt vmcnt(0) lgkmcnt(0)
	s_barrier
	v_add_u32_e32 v30, 0x400, v25
	v_mul_f32_e32 v15, v44, v35
	v_mul_f32_e32 v24, v12, v35
	;; [unrolled: 1-line block ×13, first 2 shown]
	v_fma_f32 v12, v12, v34, -v15
	v_fma_f32 v13, v13, v36, -v35
	v_fmac_f32_e32 v37, v45, v36
	v_fma_f32 v15, v29, v38, -v48
	v_fma_f32 v21, v21, v40, -v49
	v_fmac_f32_e32 v32, v33, v40
	v_fma_f32 v29, v8, v0, -v41
	v_fmac_f32_e32 v50, v10, v0
	;; [unrolled: 2-line block ×3, first 2 shown]
	v_fmac_f32_e32 v39, v46, v38
	v_fma_f32 v10, v23, v42, -v51
	v_fmac_f32_e32 v43, v47, v42
	v_sub_f32_e32 v0, v14, v0
	v_sub_f32_e32 v1, v21, v13
	;; [unrolled: 1-line block ×7, first 2 shown]
	v_fma_f32 v14, v14, 2.0, -v0
	v_fma_f32 v21, v21, 2.0, -v1
	v_sub_f32_e32 v34, v0, v8
	v_fma_f32 v15, v15, 2.0, -v12
	v_fma_f32 v29, v29, 2.0, -v23
	;; [unrolled: 1-line block ×3, first 2 shown]
	v_sub_f32_e32 v36, v12, v24
	v_add_f32_e32 v37, v13, v23
	v_sub_f32_e32 v23, v14, v21
	v_fma_f32 v24, v0, 2.0, -v34
	v_fma_f32 v10, v39, 2.0, -v13
	v_sub_f32_e32 v29, v15, v29
	v_fma_f32 v38, v12, 2.0, -v36
	v_mov_b32_e32 v21, v34
	v_fma_f32 v12, v14, 2.0, -v23
	v_mov_b32_e32 v14, v24
	v_sub_f32_e32 v33, v10, v33
	v_fma_f32 v39, v13, 2.0, -v37
	v_fma_f32 v13, v15, 2.0, -v29
	v_fmac_f32_e32 v21, 0x3f3504f3, v36
	v_fmac_f32_e32 v14, 0xbf3504f3, v38
	v_sub_f32_e32 v0, v23, v33
	v_sub_f32_e32 v13, v12, v13
	v_fmac_f32_e32 v21, 0xbf3504f3, v37
	v_fmac_f32_e32 v14, 0xbf3504f3, v39
	v_fma_f32 v15, v23, 2.0, -v0
	v_fma_f32 v12, v12, 2.0, -v13
	;; [unrolled: 1-line block ×4, first 2 shown]
	v_add_u32_e32 v34, 0xa00, v28
	v_add_u32_e32 v35, 0x1440, v28
	ds_write2_b32 v31, v0, v21 offset0:102 offset1:183
	ds_write2_b32 v25, v15, v23 offset0:162 offset1:243
	;; [unrolled: 1-line block ×3, first 2 shown]
	ds_write2_b32 v25, v12, v24 offset1:81
	s_waitcnt lgkmcnt(0)
	s_barrier
	ds_read2_b32 v[12:13], v34 offset0:8 offset1:251
	ds_read2_b32 v[14:15], v35 offset1:243
	ds_read_b32 v23, v28
	ds_read_b32 v24, v17
	v_mul_f32_e32 v38, 0x3f3504f3, v38
	v_mul_f32_e32 v39, 0x3f3504f3, v39
	;; [unrolled: 1-line block ×4, first 2 shown]
	s_and_saveexec_b64 s[6:7], s[0:1]
	s_cbranch_execz .LBB0_45
; %bb.44:
	ds_read_b32 v21, v28 offset:4536
	ds_read_b32 v0, v18 offset:1944
	;; [unrolled: 1-line block ×3, first 2 shown]
.LBB0_45:
	s_or_b64 exec, exec, s[6:7]
	v_mul_f32_e32 v3, v9, v3
	v_fmac_f32_e32 v3, v11, v2
	v_sub_f32_e32 v2, v22, v3
	v_add_f32_e32 v9, v2, v1
	v_fma_f32 v3, v22, 2.0, -v2
	v_fma_f32 v8, v32, 2.0, -v8
	;; [unrolled: 1-line block ×3, first 2 shown]
	v_sub_f32_e32 v8, v3, v8
	v_fma_f32 v2, v10, 2.0, -v33
	v_sub_f32_e32 v10, v1, v39
	v_fma_f32 v3, v3, 2.0, -v8
	v_add_f32_e32 v10, v38, v10
	v_add_f32_e32 v22, v9, v37
	v_sub_f32_e32 v2, v3, v2
	v_fma_f32 v11, v1, 2.0, -v10
	v_add_f32_e32 v1, v8, v29
	v_add_f32_e32 v22, v36, v22
	v_fma_f32 v3, v3, 2.0, -v2
	v_fma_f32 v8, v8, 2.0, -v1
	;; [unrolled: 1-line block ×3, first 2 shown]
	s_waitcnt lgkmcnt(0)
	s_barrier
	ds_write2_b32 v25, v3, v11 offset1:81
	ds_write2_b32 v25, v8, v9 offset0:162 offset1:243
	ds_write2_b32 v30, v2, v10 offset0:68 offset1:149
	;; [unrolled: 1-line block ×3, first 2 shown]
	s_waitcnt lgkmcnt(0)
	s_barrier
	ds_read2_b32 v[8:9], v34 offset0:8 offset1:251
	ds_read2_b32 v[10:11], v35 offset1:243
	ds_read_b32 v25, v28
	ds_read_b32 v17, v17
	s_and_saveexec_b64 s[6:7], s[0:1]
	s_cbranch_execz .LBB0_47
; %bb.46:
	ds_read_b32 v22, v28 offset:4536
	ds_read_b32 v1, v18 offset:1944
	;; [unrolled: 1-line block ×3, first 2 shown]
.LBB0_47:
	s_or_b64 exec, exec, s[6:7]
	s_and_saveexec_b64 s[6:7], vcc
	s_cbranch_execz .LBB0_50
; %bb.48:
	v_lshlrev_b32_e32 v2, 1, v27
	v_mov_b32_e32 v3, 0
	v_lshlrev_b64 v[27:28], 3, v[2:3]
	v_mov_b32_e32 v18, s9
	v_add_co_u32_e32 v2, vcc, s8, v27
	v_addc_co_u32_e32 v28, vcc, v18, v28, vcc
	v_add_co_u32_e32 v27, vcc, 0x1000, v2
	v_lshlrev_b32_e32 v2, 1, v26
	v_lshlrev_b64 v[31:32], 3, v[2:3]
	v_addc_co_u32_e32 v28, vcc, 0, v28, vcc
	v_add_co_u32_e32 v2, vcc, s8, v31
	s_movk_i32 s6, 0x1000
	v_addc_co_u32_e32 v18, vcc, v18, v32, vcc
	v_add_co_u32_e32 v31, vcc, s6, v2
	global_load_dwordx4 v[27:30], v[27:28], off offset:1064
	v_addc_co_u32_e32 v32, vcc, 0, v18, vcc
	global_load_dwordx4 v[31:34], v[31:32], off offset:1064
	s_mov_b32 s10, 0xca4587e7
	v_mul_hi_u32 v2, v26, s10
	v_mul_lo_u32 v18, s5, v6
	v_mul_lo_u32 v39, s4, v7
	v_mad_u64_u32 v[6:7], s[4:5], s4, v6, 0
	v_lshrrev_b32_e32 v2, 9, v2
	v_mul_u32_u24_e32 v2, 0x288, v2
	v_sub_u32_e32 v38, v26, v2
	v_mad_u64_u32 v[35:36], s[6:7], s2, v38, 0
	v_add3_u32 v7, v7, v39, v18
	v_lshlrev_b64 v[6:7], 3, v[6:7]
	v_mov_b32_e32 v2, v36
	v_mad_u64_u32 v[36:37], s[4:5], s3, v38, v[2:3]
	v_lshlrev_b64 v[4:5], 3, v[4:5]
	s_movk_i32 s6, 0x288
	s_waitcnt vmcnt(1) lgkmcnt(3)
	v_mul_f32_e32 v2, v9, v28
	s_waitcnt lgkmcnt(2)
	v_mul_f32_e32 v18, v11, v30
	v_mul_f32_e32 v28, v13, v28
	v_mul_f32_e32 v30, v15, v30
	s_waitcnt vmcnt(0)
	v_mul_f32_e32 v37, v8, v32
	v_mul_f32_e32 v39, v10, v34
	;; [unrolled: 1-line block ×4, first 2 shown]
	v_fma_f32 v2, v13, v27, -v2
	v_fma_f32 v13, v15, v29, -v18
	v_fmac_f32_e32 v28, v9, v27
	v_fmac_f32_e32 v30, v11, v29
	v_fma_f32 v9, v12, v31, -v37
	v_fma_f32 v14, v14, v33, -v39
	v_fmac_f32_e32 v32, v8, v31
	v_fmac_f32_e32 v34, v10, v33
	v_add_f32_e32 v8, v28, v30
	v_add_f32_e32 v10, v2, v13
	v_sub_f32_e32 v29, v28, v30
	s_waitcnt lgkmcnt(0)
	v_add_f32_e32 v11, v17, v28
	v_sub_f32_e32 v28, v9, v14
	v_add_f32_e32 v12, v32, v34
	v_add_f32_e32 v15, v9, v14
	v_sub_f32_e32 v31, v32, v34
	v_add_f32_e32 v18, v25, v32
	v_add_f32_e32 v32, v23, v9
	v_fma_f32 v9, -0.5, v8, v17
	v_fma_f32 v8, -0.5, v10, v24
	v_sub_f32_e32 v27, v2, v13
	v_add_f32_e32 v2, v24, v2
	v_mov_b32_e32 v17, v8
	v_add_f32_e32 v10, v2, v13
	v_fma_f32 v13, -0.5, v12, v25
	v_fmac_f32_e32 v8, 0x3f5db3d7, v29
	v_fmac_f32_e32 v17, 0xbf5db3d7, v29
	v_mov_b32_e32 v2, s15
	v_add_co_u32_e32 v25, vcc, s14, v6
	v_add_u32_e32 v29, 0x288, v38
	v_addc_co_u32_e32 v2, vcc, v2, v7, vcc
	v_mad_u64_u32 v[6:7], s[4:5], s2, v29, 0
	v_add_co_u32_e32 v4, vcc, v25, v4
	v_fma_f32 v12, -0.5, v15, v23
	v_add_f32_e32 v15, v18, v34
	v_mov_b32_e32 v18, v9
	v_mov_b32_e32 v24, v13
	v_addc_co_u32_e32 v5, vcc, v2, v5, vcc
	v_mov_b32_e32 v2, v7
	v_add_f32_e32 v11, v11, v30
	v_fmac_f32_e32 v9, 0xbf5db3d7, v27
	v_fmac_f32_e32 v13, 0xbf5db3d7, v28
	v_fmac_f32_e32 v18, 0x3f5db3d7, v27
	v_fmac_f32_e32 v24, 0x3f5db3d7, v28
	v_lshlrev_b64 v[27:28], 3, v[35:36]
	v_mad_u64_u32 v[29:30], s[4:5], s3, v29, v[2:3]
	v_add_co_u32_e32 v27, vcc, v4, v27
	v_add_f32_e32 v14, v32, v14
	v_addc_co_u32_e32 v28, vcc, v5, v28, vcc
	v_add_u32_e32 v25, 0x510, v38
	global_store_dwordx2 v[27:28], v[14:15], off
	v_mov_b32_e32 v7, v29
	v_mad_u64_u32 v[14:15], s[4:5], s2, v25, 0
	v_add_u32_e32 v29, 0xf3, v26
	v_mul_hi_u32 v30, v29, s10
	v_mov_b32_e32 v2, v15
	v_mad_u64_u32 v[27:28], s[4:5], s3, v25, v[2:3]
	v_lshrrev_b32_e32 v2, 9, v30
	v_mul_u32_u24_e32 v15, 0x288, v2
	v_sub_u32_e32 v15, v29, v15
	s_movk_i32 s4, 0x798
	v_mad_u32_u24 v25, v2, s4, v15
	v_mad_u64_u32 v[28:29], s[4:5], s2, v25, 0
	v_lshlrev_b64 v[6:7], 3, v[6:7]
	v_mov_b32_e32 v23, v12
	v_add_co_u32_e32 v6, vcc, v4, v6
	v_fmac_f32_e32 v12, 0x3f5db3d7, v31
	v_addc_co_u32_e32 v7, vcc, v5, v7, vcc
	v_mov_b32_e32 v2, v29
	global_store_dwordx2 v[6:7], v[12:13], off
	v_mad_u64_u32 v[12:13], s[4:5], s3, v25, v[2:3]
	v_mov_b32_e32 v15, v27
	v_lshlrev_b64 v[6:7], 3, v[14:15]
	v_add_u32_e32 v14, 0x288, v25
	v_mov_b32_e32 v29, v12
	v_mad_u64_u32 v[12:13], s[4:5], s2, v14, 0
	v_add_co_u32_e32 v6, vcc, v4, v6
	v_fmac_f32_e32 v23, 0xbf5db3d7, v31
	v_addc_co_u32_e32 v7, vcc, v5, v7, vcc
	v_mov_b32_e32 v2, v13
	global_store_dwordx2 v[6:7], v[23:24], off
	v_mad_u64_u32 v[13:14], s[4:5], s3, v14, v[2:3]
	v_add_u32_e32 v23, 0x510, v25
	v_mad_u64_u32 v[14:15], s[4:5], s2, v23, 0
	v_lshlrev_b64 v[6:7], 3, v[28:29]
	v_add_co_u32_e32 v6, vcc, v4, v6
	v_addc_co_u32_e32 v7, vcc, v5, v7, vcc
	v_mov_b32_e32 v2, v15
	global_store_dwordx2 v[6:7], v[10:11], off
	v_mad_u64_u32 v[10:11], s[4:5], s3, v23, v[2:3]
	v_lshlrev_b64 v[6:7], 3, v[12:13]
	v_add_co_u32_e32 v6, vcc, v4, v6
	v_addc_co_u32_e32 v7, vcc, v5, v7, vcc
	v_mov_b32_e32 v15, v10
	global_store_dwordx2 v[6:7], v[8:9], off
	v_lshlrev_b64 v[6:7], 3, v[14:15]
	v_add_co_u32_e32 v6, vcc, v4, v6
	v_addc_co_u32_e32 v7, vcc, v5, v7, vcc
	global_store_dwordx2 v[6:7], v[17:18], off
	v_add_u32_e32 v6, 0x1e6, v26
	v_cmp_gt_u32_e32 vcc, s6, v6
	s_and_b64 exec, exec, vcc
	s_cbranch_execz .LBB0_50
; %bb.49:
	v_add_u32_e32 v2, 0xffffff5e, v26
	v_cndmask_b32_e64 v2, v2, v16, s[0:1]
	v_lshlrev_b32_e32 v2, 1, v2
	v_lshlrev_b64 v[2:3], 3, v[2:3]
	v_mov_b32_e32 v7, s9
	v_add_co_u32_e32 v2, vcc, s8, v2
	v_addc_co_u32_e32 v3, vcc, v7, v3, vcc
	v_add_co_u32_e32 v2, vcc, 0x1000, v2
	v_addc_co_u32_e32 v3, vcc, 0, v3, vcc
	global_load_dwordx4 v[7:10], v[2:3], off offset:1064
	v_mad_u64_u32 v[2:3], s[0:1], s2, v6, 0
	v_add_u32_e32 v17, 0x46e, v26
	v_mad_u64_u32 v[11:12], s[0:1], s2, v17, 0
	v_add_u32_e32 v18, 0x6f6, v26
	v_mad_u64_u32 v[13:14], s[0:1], s2, v18, 0
	v_mad_u64_u32 v[15:16], s[0:1], s3, v6, v[3:4]
	v_mov_b32_e32 v3, v12
	v_mad_u64_u32 v[16:17], s[0:1], s3, v17, v[3:4]
	v_mov_b32_e32 v6, v14
	v_mov_b32_e32 v3, v15
	v_lshlrev_b64 v[2:3], 3, v[2:3]
	v_mov_b32_e32 v12, v16
	v_lshlrev_b64 v[11:12], 3, v[11:12]
	v_add_co_u32_e32 v2, vcc, v4, v2
	v_addc_co_u32_e32 v3, vcc, v5, v3, vcc
	v_add_co_u32_e32 v11, vcc, v4, v11
	v_addc_co_u32_e32 v12, vcc, v5, v12, vcc
	s_waitcnt vmcnt(0)
	v_mad_u64_u32 v[17:18], s[0:1], s3, v18, v[6:7]
	v_mul_f32_e32 v6, v22, v8
	v_mul_f32_e32 v8, v21, v8
	v_mov_b32_e32 v14, v17
	v_lshlrev_b64 v[13:14], 3, v[13:14]
	v_fma_f32 v6, v21, v7, -v6
	v_add_co_u32_e32 v4, vcc, v4, v13
	v_mul_f32_e32 v13, v20, v10
	v_mul_f32_e32 v10, v19, v10
	v_fmac_f32_e32 v8, v22, v7
	v_fma_f32 v7, v19, v9, -v13
	v_fmac_f32_e32 v10, v20, v9
	v_addc_co_u32_e32 v5, vcc, v5, v14, vcc
	v_add_f32_e32 v13, v6, v7
	v_sub_f32_e32 v14, v8, v10
	v_add_f32_e32 v15, v1, v8
	v_add_f32_e32 v8, v8, v10
	;; [unrolled: 1-line block ×3, first 2 shown]
	v_fmac_f32_e32 v0, -0.5, v13
	v_fmac_f32_e32 v1, -0.5, v8
	v_sub_f32_e32 v16, v6, v7
	v_add_f32_e32 v6, v9, v7
	v_mov_b32_e32 v8, v0
	v_mov_b32_e32 v9, v1
	v_add_f32_e32 v7, v15, v10
	v_fmac_f32_e32 v8, 0x3f5db3d7, v14
	v_fmac_f32_e32 v9, 0xbf5db3d7, v16
	;; [unrolled: 1-line block ×4, first 2 shown]
	global_store_dwordx2 v[2:3], v[6:7], off
	global_store_dwordx2 v[11:12], v[8:9], off
	;; [unrolled: 1-line block ×3, first 2 shown]
.LBB0_50:
	s_endpgm
	.section	.rodata,"a",@progbits
	.p2align	6, 0x0
	.amdhsa_kernel fft_rtc_fwd_len1944_factors_3_3_3_3_8_3_wgs_243_tpt_243_halfLds_sp_op_CI_CI_sbrr_dirReg
		.amdhsa_group_segment_fixed_size 0
		.amdhsa_private_segment_fixed_size 0
		.amdhsa_kernarg_size 104
		.amdhsa_user_sgpr_count 6
		.amdhsa_user_sgpr_private_segment_buffer 1
		.amdhsa_user_sgpr_dispatch_ptr 0
		.amdhsa_user_sgpr_queue_ptr 0
		.amdhsa_user_sgpr_kernarg_segment_ptr 1
		.amdhsa_user_sgpr_dispatch_id 0
		.amdhsa_user_sgpr_flat_scratch_init 0
		.amdhsa_user_sgpr_private_segment_size 0
		.amdhsa_uses_dynamic_stack 0
		.amdhsa_system_sgpr_private_segment_wavefront_offset 0
		.amdhsa_system_sgpr_workgroup_id_x 1
		.amdhsa_system_sgpr_workgroup_id_y 0
		.amdhsa_system_sgpr_workgroup_id_z 0
		.amdhsa_system_sgpr_workgroup_info 0
		.amdhsa_system_vgpr_workitem_id 0
		.amdhsa_next_free_vgpr 53
		.amdhsa_next_free_sgpr 32
		.amdhsa_reserve_vcc 1
		.amdhsa_reserve_flat_scratch 0
		.amdhsa_float_round_mode_32 0
		.amdhsa_float_round_mode_16_64 0
		.amdhsa_float_denorm_mode_32 3
		.amdhsa_float_denorm_mode_16_64 3
		.amdhsa_dx10_clamp 1
		.amdhsa_ieee_mode 1
		.amdhsa_fp16_overflow 0
		.amdhsa_exception_fp_ieee_invalid_op 0
		.amdhsa_exception_fp_denorm_src 0
		.amdhsa_exception_fp_ieee_div_zero 0
		.amdhsa_exception_fp_ieee_overflow 0
		.amdhsa_exception_fp_ieee_underflow 0
		.amdhsa_exception_fp_ieee_inexact 0
		.amdhsa_exception_int_div_zero 0
	.end_amdhsa_kernel
	.text
.Lfunc_end0:
	.size	fft_rtc_fwd_len1944_factors_3_3_3_3_8_3_wgs_243_tpt_243_halfLds_sp_op_CI_CI_sbrr_dirReg, .Lfunc_end0-fft_rtc_fwd_len1944_factors_3_3_3_3_8_3_wgs_243_tpt_243_halfLds_sp_op_CI_CI_sbrr_dirReg
                                        ; -- End function
	.section	.AMDGPU.csdata,"",@progbits
; Kernel info:
; codeLenInByte = 7248
; NumSgprs: 36
; NumVgprs: 53
; ScratchSize: 0
; MemoryBound: 0
; FloatMode: 240
; IeeeMode: 1
; LDSByteSize: 0 bytes/workgroup (compile time only)
; SGPRBlocks: 4
; VGPRBlocks: 13
; NumSGPRsForWavesPerEU: 36
; NumVGPRsForWavesPerEU: 53
; Occupancy: 4
; WaveLimiterHint : 1
; COMPUTE_PGM_RSRC2:SCRATCH_EN: 0
; COMPUTE_PGM_RSRC2:USER_SGPR: 6
; COMPUTE_PGM_RSRC2:TRAP_HANDLER: 0
; COMPUTE_PGM_RSRC2:TGID_X_EN: 1
; COMPUTE_PGM_RSRC2:TGID_Y_EN: 0
; COMPUTE_PGM_RSRC2:TGID_Z_EN: 0
; COMPUTE_PGM_RSRC2:TIDIG_COMP_CNT: 0
	.type	__hip_cuid_b636bce8ec810571,@object ; @__hip_cuid_b636bce8ec810571
	.section	.bss,"aw",@nobits
	.globl	__hip_cuid_b636bce8ec810571
__hip_cuid_b636bce8ec810571:
	.byte	0                               ; 0x0
	.size	__hip_cuid_b636bce8ec810571, 1

	.ident	"AMD clang version 19.0.0git (https://github.com/RadeonOpenCompute/llvm-project roc-6.4.0 25133 c7fe45cf4b819c5991fe208aaa96edf142730f1d)"
	.section	".note.GNU-stack","",@progbits
	.addrsig
	.addrsig_sym __hip_cuid_b636bce8ec810571
	.amdgpu_metadata
---
amdhsa.kernels:
  - .args:
      - .actual_access:  read_only
        .address_space:  global
        .offset:         0
        .size:           8
        .value_kind:     global_buffer
      - .offset:         8
        .size:           8
        .value_kind:     by_value
      - .actual_access:  read_only
        .address_space:  global
        .offset:         16
        .size:           8
        .value_kind:     global_buffer
      - .actual_access:  read_only
        .address_space:  global
        .offset:         24
        .size:           8
        .value_kind:     global_buffer
      - .actual_access:  read_only
        .address_space:  global
        .offset:         32
        .size:           8
        .value_kind:     global_buffer
      - .offset:         40
        .size:           8
        .value_kind:     by_value
      - .actual_access:  read_only
        .address_space:  global
        .offset:         48
        .size:           8
        .value_kind:     global_buffer
      - .actual_access:  read_only
        .address_space:  global
        .offset:         56
        .size:           8
        .value_kind:     global_buffer
      - .offset:         64
        .size:           4
        .value_kind:     by_value
      - .actual_access:  read_only
        .address_space:  global
        .offset:         72
        .size:           8
        .value_kind:     global_buffer
      - .actual_access:  read_only
        .address_space:  global
        .offset:         80
        .size:           8
        .value_kind:     global_buffer
      - .actual_access:  read_only
        .address_space:  global
        .offset:         88
        .size:           8
        .value_kind:     global_buffer
      - .actual_access:  write_only
        .address_space:  global
        .offset:         96
        .size:           8
        .value_kind:     global_buffer
    .group_segment_fixed_size: 0
    .kernarg_segment_align: 8
    .kernarg_segment_size: 104
    .language:       OpenCL C
    .language_version:
      - 2
      - 0
    .max_flat_workgroup_size: 243
    .name:           fft_rtc_fwd_len1944_factors_3_3_3_3_8_3_wgs_243_tpt_243_halfLds_sp_op_CI_CI_sbrr_dirReg
    .private_segment_fixed_size: 0
    .sgpr_count:     36
    .sgpr_spill_count: 0
    .symbol:         fft_rtc_fwd_len1944_factors_3_3_3_3_8_3_wgs_243_tpt_243_halfLds_sp_op_CI_CI_sbrr_dirReg.kd
    .uniform_work_group_size: 1
    .uses_dynamic_stack: false
    .vgpr_count:     53
    .vgpr_spill_count: 0
    .wavefront_size: 64
amdhsa.target:   amdgcn-amd-amdhsa--gfx906
amdhsa.version:
  - 1
  - 2
...

	.end_amdgpu_metadata
